;; amdgpu-corpus repo=ROCm/rocFFT kind=compiled arch=gfx1201 opt=O3
	.text
	.amdgcn_target "amdgcn-amd-amdhsa--gfx1201"
	.amdhsa_code_object_version 6
	.protected	fft_rtc_back_len88_factors_11_8_wgs_121_tpt_11_halfLds_dp_ip_CI_unitstride_sbrr_dirReg ; -- Begin function fft_rtc_back_len88_factors_11_8_wgs_121_tpt_11_halfLds_dp_ip_CI_unitstride_sbrr_dirReg
	.globl	fft_rtc_back_len88_factors_11_8_wgs_121_tpt_11_halfLds_dp_ip_CI_unitstride_sbrr_dirReg
	.p2align	8
	.type	fft_rtc_back_len88_factors_11_8_wgs_121_tpt_11_halfLds_dp_ip_CI_unitstride_sbrr_dirReg,@function
fft_rtc_back_len88_factors_11_8_wgs_121_tpt_11_halfLds_dp_ip_CI_unitstride_sbrr_dirReg: ; @fft_rtc_back_len88_factors_11_8_wgs_121_tpt_11_halfLds_dp_ip_CI_unitstride_sbrr_dirReg
; %bb.0:
	s_load_b128 s[4:7], s[0:1], 0x0
	v_mul_u32_u24_e32 v1, 0x1746, v0
	s_clause 0x1
	s_load_b64 s[8:9], s[0:1], 0x50
	s_load_b64 s[10:11], s[0:1], 0x18
	v_mov_b32_e32 v3, 0
	v_lshrrev_b32_e32 v1, 16, v1
	s_delay_alu instid0(VALU_DEP_1) | instskip(SKIP_1) | instid1(VALU_DEP_4)
	v_mad_co_u64_u32 v[44:45], null, ttmp9, 11, v[1:2]
	v_mov_b32_e32 v1, 0
	v_dual_mov_b32 v2, 0 :: v_dual_mov_b32 v45, v3
	s_delay_alu instid0(VALU_DEP_1) | instskip(SKIP_2) | instid1(VALU_DEP_1)
	v_dual_mov_b32 v7, v44 :: v_dual_mov_b32 v8, v45
	s_wait_kmcnt 0x0
	v_cmp_lt_u64_e64 s2, s[6:7], 2
	s_and_b32 vcc_lo, exec_lo, s2
	s_cbranch_vccnz .LBB0_8
; %bb.1:
	s_load_b64 s[2:3], s[0:1], 0x10
	v_mov_b32_e32 v1, 0
	v_dual_mov_b32 v2, 0 :: v_dual_mov_b32 v5, v44
	v_mov_b32_e32 v6, v45
	s_add_nc_u64 s[12:13], s[10:11], 8
	s_mov_b64 s[14:15], 1
	s_wait_kmcnt 0x0
	s_add_nc_u64 s[16:17], s[2:3], 8
	s_mov_b32 s3, 0
.LBB0_2:                                ; =>This Inner Loop Header: Depth=1
	s_load_b64 s[18:19], s[16:17], 0x0
                                        ; implicit-def: $vgpr7_vgpr8
	s_mov_b32 s2, exec_lo
	s_wait_kmcnt 0x0
	v_or_b32_e32 v4, s19, v6
	s_delay_alu instid0(VALU_DEP_1)
	v_cmpx_ne_u64_e32 0, v[3:4]
	s_wait_alu 0xfffe
	s_xor_b32 s20, exec_lo, s2
	s_cbranch_execz .LBB0_4
; %bb.3:                                ;   in Loop: Header=BB0_2 Depth=1
	s_cvt_f32_u32 s2, s18
	s_cvt_f32_u32 s21, s19
	s_sub_nc_u64 s[24:25], 0, s[18:19]
	s_wait_alu 0xfffe
	s_delay_alu instid0(SALU_CYCLE_1) | instskip(SKIP_1) | instid1(SALU_CYCLE_2)
	s_fmamk_f32 s2, s21, 0x4f800000, s2
	s_wait_alu 0xfffe
	v_s_rcp_f32 s2, s2
	s_delay_alu instid0(TRANS32_DEP_1) | instskip(SKIP_1) | instid1(SALU_CYCLE_2)
	s_mul_f32 s2, s2, 0x5f7ffffc
	s_wait_alu 0xfffe
	s_mul_f32 s21, s2, 0x2f800000
	s_wait_alu 0xfffe
	s_delay_alu instid0(SALU_CYCLE_2) | instskip(SKIP_1) | instid1(SALU_CYCLE_2)
	s_trunc_f32 s21, s21
	s_wait_alu 0xfffe
	s_fmamk_f32 s2, s21, 0xcf800000, s2
	s_cvt_u32_f32 s23, s21
	s_wait_alu 0xfffe
	s_delay_alu instid0(SALU_CYCLE_1) | instskip(SKIP_1) | instid1(SALU_CYCLE_2)
	s_cvt_u32_f32 s22, s2
	s_wait_alu 0xfffe
	s_mul_u64 s[26:27], s[24:25], s[22:23]
	s_wait_alu 0xfffe
	s_mul_hi_u32 s29, s22, s27
	s_mul_i32 s28, s22, s27
	s_mul_hi_u32 s2, s22, s26
	s_mul_i32 s30, s23, s26
	s_wait_alu 0xfffe
	s_add_nc_u64 s[28:29], s[2:3], s[28:29]
	s_mul_hi_u32 s21, s23, s26
	s_mul_hi_u32 s31, s23, s27
	s_add_co_u32 s2, s28, s30
	s_wait_alu 0xfffe
	s_add_co_ci_u32 s2, s29, s21
	s_mul_i32 s26, s23, s27
	s_add_co_ci_u32 s27, s31, 0
	s_wait_alu 0xfffe
	s_add_nc_u64 s[26:27], s[2:3], s[26:27]
	s_wait_alu 0xfffe
	v_add_co_u32 v4, s2, s22, s26
	s_delay_alu instid0(VALU_DEP_1) | instskip(SKIP_1) | instid1(VALU_DEP_1)
	s_cmp_lg_u32 s2, 0
	s_add_co_ci_u32 s23, s23, s27
	v_readfirstlane_b32 s22, v4
	s_wait_alu 0xfffe
	s_delay_alu instid0(VALU_DEP_1)
	s_mul_u64 s[24:25], s[24:25], s[22:23]
	s_wait_alu 0xfffe
	s_mul_hi_u32 s27, s22, s25
	s_mul_i32 s26, s22, s25
	s_mul_hi_u32 s2, s22, s24
	s_mul_i32 s28, s23, s24
	s_wait_alu 0xfffe
	s_add_nc_u64 s[26:27], s[2:3], s[26:27]
	s_mul_hi_u32 s21, s23, s24
	s_mul_hi_u32 s22, s23, s25
	s_wait_alu 0xfffe
	s_add_co_u32 s2, s26, s28
	s_add_co_ci_u32 s2, s27, s21
	s_mul_i32 s24, s23, s25
	s_add_co_ci_u32 s25, s22, 0
	s_wait_alu 0xfffe
	s_add_nc_u64 s[24:25], s[2:3], s[24:25]
	s_wait_alu 0xfffe
	v_add_co_u32 v4, s2, v4, s24
	s_delay_alu instid0(VALU_DEP_1) | instskip(SKIP_1) | instid1(VALU_DEP_1)
	s_cmp_lg_u32 s2, 0
	s_add_co_ci_u32 s2, s23, s25
	v_mul_hi_u32 v13, v5, v4
	s_wait_alu 0xfffe
	v_mad_co_u64_u32 v[7:8], null, v5, s2, 0
	v_mad_co_u64_u32 v[9:10], null, v6, v4, 0
	;; [unrolled: 1-line block ×3, first 2 shown]
	s_delay_alu instid0(VALU_DEP_3) | instskip(SKIP_1) | instid1(VALU_DEP_4)
	v_add_co_u32 v4, vcc_lo, v13, v7
	s_wait_alu 0xfffd
	v_add_co_ci_u32_e32 v7, vcc_lo, 0, v8, vcc_lo
	s_delay_alu instid0(VALU_DEP_2) | instskip(SKIP_1) | instid1(VALU_DEP_2)
	v_add_co_u32 v4, vcc_lo, v4, v9
	s_wait_alu 0xfffd
	v_add_co_ci_u32_e32 v4, vcc_lo, v7, v10, vcc_lo
	s_wait_alu 0xfffd
	v_add_co_ci_u32_e32 v7, vcc_lo, 0, v12, vcc_lo
	s_delay_alu instid0(VALU_DEP_2) | instskip(SKIP_1) | instid1(VALU_DEP_2)
	v_add_co_u32 v4, vcc_lo, v4, v11
	s_wait_alu 0xfffd
	v_add_co_ci_u32_e32 v9, vcc_lo, 0, v7, vcc_lo
	s_delay_alu instid0(VALU_DEP_2) | instskip(SKIP_1) | instid1(VALU_DEP_3)
	v_mul_lo_u32 v10, s19, v4
	v_mad_co_u64_u32 v[7:8], null, s18, v4, 0
	v_mul_lo_u32 v11, s18, v9
	s_delay_alu instid0(VALU_DEP_2) | instskip(NEXT) | instid1(VALU_DEP_2)
	v_sub_co_u32 v7, vcc_lo, v5, v7
	v_add3_u32 v8, v8, v11, v10
	s_delay_alu instid0(VALU_DEP_1) | instskip(SKIP_1) | instid1(VALU_DEP_1)
	v_sub_nc_u32_e32 v10, v6, v8
	s_wait_alu 0xfffd
	v_subrev_co_ci_u32_e64 v10, s2, s19, v10, vcc_lo
	v_add_co_u32 v11, s2, v4, 2
	s_wait_alu 0xf1ff
	v_add_co_ci_u32_e64 v12, s2, 0, v9, s2
	v_sub_co_u32 v13, s2, v7, s18
	v_sub_co_ci_u32_e32 v8, vcc_lo, v6, v8, vcc_lo
	s_wait_alu 0xf1ff
	v_subrev_co_ci_u32_e64 v10, s2, 0, v10, s2
	s_delay_alu instid0(VALU_DEP_3) | instskip(NEXT) | instid1(VALU_DEP_3)
	v_cmp_le_u32_e32 vcc_lo, s18, v13
	v_cmp_eq_u32_e64 s2, s19, v8
	s_wait_alu 0xfffd
	v_cndmask_b32_e64 v13, 0, -1, vcc_lo
	v_cmp_le_u32_e32 vcc_lo, s19, v10
	s_wait_alu 0xfffd
	v_cndmask_b32_e64 v14, 0, -1, vcc_lo
	v_cmp_le_u32_e32 vcc_lo, s18, v7
	;; [unrolled: 3-line block ×3, first 2 shown]
	s_wait_alu 0xfffd
	v_cndmask_b32_e64 v15, 0, -1, vcc_lo
	v_cmp_eq_u32_e32 vcc_lo, s19, v10
	s_wait_alu 0xf1ff
	s_delay_alu instid0(VALU_DEP_2)
	v_cndmask_b32_e64 v7, v15, v7, s2
	s_wait_alu 0xfffd
	v_cndmask_b32_e32 v10, v14, v13, vcc_lo
	v_add_co_u32 v13, vcc_lo, v4, 1
	s_wait_alu 0xfffd
	v_add_co_ci_u32_e32 v14, vcc_lo, 0, v9, vcc_lo
	s_delay_alu instid0(VALU_DEP_3) | instskip(SKIP_2) | instid1(VALU_DEP_3)
	v_cmp_ne_u32_e32 vcc_lo, 0, v10
	s_wait_alu 0xfffd
	v_cndmask_b32_e32 v10, v13, v11, vcc_lo
	v_cndmask_b32_e32 v8, v14, v12, vcc_lo
	v_cmp_ne_u32_e32 vcc_lo, 0, v7
	s_wait_alu 0xfffd
	s_delay_alu instid0(VALU_DEP_2)
	v_dual_cndmask_b32 v7, v4, v10 :: v_dual_cndmask_b32 v8, v9, v8
.LBB0_4:                                ;   in Loop: Header=BB0_2 Depth=1
	s_wait_alu 0xfffe
	s_and_not1_saveexec_b32 s2, s20
	s_cbranch_execz .LBB0_6
; %bb.5:                                ;   in Loop: Header=BB0_2 Depth=1
	v_cvt_f32_u32_e32 v4, s18
	s_sub_co_i32 s20, 0, s18
	s_delay_alu instid0(VALU_DEP_1) | instskip(NEXT) | instid1(TRANS32_DEP_1)
	v_rcp_iflag_f32_e32 v4, v4
	v_mul_f32_e32 v4, 0x4f7ffffe, v4
	s_delay_alu instid0(VALU_DEP_1) | instskip(SKIP_1) | instid1(VALU_DEP_1)
	v_cvt_u32_f32_e32 v4, v4
	s_wait_alu 0xfffe
	v_mul_lo_u32 v7, s20, v4
	s_delay_alu instid0(VALU_DEP_1) | instskip(NEXT) | instid1(VALU_DEP_1)
	v_mul_hi_u32 v7, v4, v7
	v_add_nc_u32_e32 v4, v4, v7
	s_delay_alu instid0(VALU_DEP_1) | instskip(NEXT) | instid1(VALU_DEP_1)
	v_mul_hi_u32 v4, v5, v4
	v_mul_lo_u32 v7, v4, s18
	v_add_nc_u32_e32 v8, 1, v4
	s_delay_alu instid0(VALU_DEP_2) | instskip(NEXT) | instid1(VALU_DEP_1)
	v_sub_nc_u32_e32 v7, v5, v7
	v_subrev_nc_u32_e32 v9, s18, v7
	v_cmp_le_u32_e32 vcc_lo, s18, v7
	s_wait_alu 0xfffd
	s_delay_alu instid0(VALU_DEP_2) | instskip(NEXT) | instid1(VALU_DEP_1)
	v_dual_cndmask_b32 v7, v7, v9 :: v_dual_cndmask_b32 v4, v4, v8
	v_cmp_le_u32_e32 vcc_lo, s18, v7
	s_delay_alu instid0(VALU_DEP_2) | instskip(SKIP_1) | instid1(VALU_DEP_1)
	v_add_nc_u32_e32 v8, 1, v4
	s_wait_alu 0xfffd
	v_dual_cndmask_b32 v7, v4, v8 :: v_dual_mov_b32 v8, v3
.LBB0_6:                                ;   in Loop: Header=BB0_2 Depth=1
	s_wait_alu 0xfffe
	s_or_b32 exec_lo, exec_lo, s2
	s_load_b64 s[20:21], s[12:13], 0x0
	s_delay_alu instid0(VALU_DEP_1)
	v_mul_lo_u32 v4, v8, s18
	v_mul_lo_u32 v11, v7, s19
	v_mad_co_u64_u32 v[9:10], null, v7, s18, 0
	s_add_nc_u64 s[14:15], s[14:15], 1
	s_add_nc_u64 s[12:13], s[12:13], 8
	s_wait_alu 0xfffe
	v_cmp_ge_u64_e64 s2, s[14:15], s[6:7]
	s_add_nc_u64 s[16:17], s[16:17], 8
	s_delay_alu instid0(VALU_DEP_2) | instskip(NEXT) | instid1(VALU_DEP_3)
	v_add3_u32 v4, v10, v11, v4
	v_sub_co_u32 v5, vcc_lo, v5, v9
	s_wait_alu 0xfffd
	s_delay_alu instid0(VALU_DEP_2) | instskip(SKIP_3) | instid1(VALU_DEP_2)
	v_sub_co_ci_u32_e32 v4, vcc_lo, v6, v4, vcc_lo
	s_and_b32 vcc_lo, exec_lo, s2
	s_wait_kmcnt 0x0
	v_mul_lo_u32 v6, s21, v5
	v_mul_lo_u32 v4, s20, v4
	v_mad_co_u64_u32 v[1:2], null, s20, v5, v[1:2]
	s_delay_alu instid0(VALU_DEP_1)
	v_add3_u32 v2, v6, v2, v4
	s_wait_alu 0xfffe
	s_cbranch_vccnz .LBB0_8
; %bb.7:                                ;   in Loop: Header=BB0_2 Depth=1
	v_dual_mov_b32 v5, v7 :: v_dual_mov_b32 v6, v8
	s_branch .LBB0_2
.LBB0_8:
	s_lshl_b64 s[2:3], s[6:7], 3
	v_mul_hi_u32 v3, 0x1745d175, v0
	s_wait_alu 0xfffe
	s_add_nc_u64 s[2:3], s[10:11], s[2:3]
	v_mov_b32_e32 v58, 0
	s_load_b64 s[2:3], s[2:3], 0x0
	s_load_b64 s[0:1], s[0:1], 0x20
                                        ; implicit-def: $vgpr42_vgpr43
                                        ; implicit-def: $vgpr34_vgpr35
                                        ; implicit-def: $vgpr30_vgpr31
                                        ; implicit-def: $vgpr22_vgpr23
                                        ; implicit-def: $vgpr10_vgpr11
                                        ; implicit-def: $vgpr26_vgpr27
                                        ; implicit-def: $vgpr18_vgpr19
                                        ; implicit-def: $vgpr38_vgpr39
                                        ; implicit-def: $vgpr14_vgpr15
	s_wait_kmcnt 0x0
	v_mul_lo_u32 v4, s2, v8
	v_mul_lo_u32 v5, s3, v7
	v_mad_co_u64_u32 v[56:57], null, s2, v7, v[1:2]
	v_mul_u32_u24_e32 v1, 11, v3
	v_cmp_gt_u64_e32 vcc_lo, s[0:1], v[7:8]
                                        ; implicit-def: $vgpr6_vgpr7
                                        ; implicit-def: $vgpr2_vgpr3
	s_delay_alu instid0(VALU_DEP_2) | instskip(NEXT) | instid1(VALU_DEP_4)
	v_sub_nc_u32_e32 v59, v0, v1
	v_add3_u32 v57, v5, v57, v4
	s_and_saveexec_b32 s1, vcc_lo
	s_cbranch_execz .LBB0_12
; %bb.9:
	s_mov_b32 s2, exec_lo
                                        ; implicit-def: $vgpr12_vgpr13
                                        ; implicit-def: $vgpr36_vgpr37
                                        ; implicit-def: $vgpr16_vgpr17
                                        ; implicit-def: $vgpr24_vgpr25
                                        ; implicit-def: $vgpr8_vgpr9
                                        ; implicit-def: $vgpr0_vgpr1
                                        ; implicit-def: $vgpr4_vgpr5
                                        ; implicit-def: $vgpr20_vgpr21
                                        ; implicit-def: $vgpr28_vgpr29
                                        ; implicit-def: $vgpr32_vgpr33
                                        ; implicit-def: $vgpr40_vgpr41
	v_cmpx_gt_u32_e32 8, v59
; %bb.10:
	v_mov_b32_e32 v60, 0
	v_lshlrev_b64_e32 v[0:1], 4, v[56:57]
	s_delay_alu instid0(VALU_DEP_2) | instskip(NEXT) | instid1(VALU_DEP_2)
	v_lshlrev_b64_e32 v[2:3], 4, v[59:60]
	v_add_co_u32 v0, s0, s8, v0
	s_wait_alu 0xf1ff
	s_delay_alu instid0(VALU_DEP_3) | instskip(NEXT) | instid1(VALU_DEP_2)
	v_add_co_ci_u32_e64 v1, s0, s9, v1, s0
	v_add_co_u32 v4, s0, v0, v2
	s_wait_alu 0xf1ff
	s_delay_alu instid0(VALU_DEP_2)
	v_add_co_ci_u32_e64 v5, s0, v1, v3, s0
	s_clause 0xa
	global_load_b128 v[12:15], v[4:5], off
	global_load_b128 v[40:43], v[4:5], off offset:128
	global_load_b128 v[36:39], v[4:5], off offset:256
	;; [unrolled: 1-line block ×10, first 2 shown]
; %bb.11:
	s_wait_alu 0xfffe
	s_or_b32 exec_lo, exec_lo, s2
	v_mov_b32_e32 v58, v59
.LBB0_12:
	s_wait_alu 0xfffe
	s_or_b32 exec_lo, exec_lo, s1
	v_mul_hi_u32 v45, 0xba2e8ba3, v44
	v_cmp_gt_u32_e64 s0, 8, v59
	s_delay_alu instid0(VALU_DEP_2) | instskip(NEXT) | instid1(VALU_DEP_1)
	v_lshrrev_b32_e32 v45, 3, v45
	v_mul_lo_u32 v45, v45, 11
	s_delay_alu instid0(VALU_DEP_1) | instskip(NEXT) | instid1(VALU_DEP_1)
	v_sub_nc_u32_e32 v44, v44, v45
	v_mul_u32_u24_e32 v44, 0x58, v44
	s_delay_alu instid0(VALU_DEP_1)
	v_lshlrev_b32_e32 v62, 3, v44
	s_and_saveexec_b32 s1, s0
	s_cbranch_execz .LBB0_14
; %bb.13:
	s_wait_loadcnt 0x9
	v_add_f64_e32 v[44:45], v[40:41], v[12:13]
	s_wait_loadcnt 0x0
	v_add_f64_e32 v[46:47], v[40:41], v[4:5]
	s_mov_b32 s28, 0x7f775887
	s_mov_b32 s26, 0x9bcd5057
	;; [unrolled: 1-line block ×7, first 2 shown]
	v_add_f64_e32 v[48:49], v[0:1], v[36:37]
	s_mov_b32 s31, 0x3feaeb8c
	v_add_f64_e64 v[50:51], v[42:43], -v[6:7]
	s_mov_b32 s35, 0xbfc2375f
	s_mov_b32 s37, 0x3fda9628
	;; [unrolled: 1-line block ×8, first 2 shown]
	s_wait_alu 0xfffe
	s_mov_b32 s20, s6
	s_mov_b32 s16, s2
	;; [unrolled: 1-line block ×5, first 2 shown]
	v_add_f64_e32 v[65:66], v[32:33], v[8:9]
	s_mov_b32 s15, 0x3fefac9e
	s_mov_b32 s13, 0xbfed1bb4
	v_add_f64_e64 v[67:68], v[38:39], -v[2:3]
	s_mov_b32 s11, 0xbfe14ced
	s_mov_b32 s25, 0xbfefac9e
	s_wait_alu 0xfffe
	s_mov_b32 s24, s14
	s_mov_b32 s23, 0x3fed1bb4
	s_mov_b32 s22, s12
	s_mov_b32 s19, 0x3fe14ced
	s_mov_b32 s18, s10
	v_add_f64_e64 v[87:88], v[34:35], -v[10:11]
	v_add_f64_e32 v[44:45], v[36:37], v[44:45]
	v_mul_f64_e32 v[52:53], s[26:27], v[46:47]
	v_mul_f64_e32 v[54:55], s[28:29], v[46:47]
	;; [unrolled: 1-line block ×15, first 2 shown]
	v_add_f64_e32 v[44:45], v[32:33], v[44:45]
	v_fma_f64 v[77:78], v[50:51], s[2:3], v[52:53]
	v_fma_f64 v[52:53], v[50:51], s[16:17], v[52:53]
	v_fma_f64 v[79:80], v[50:51], s[6:7], v[54:55]
	v_fma_f64 v[54:55], v[50:51], s[20:21], v[54:55]
	v_fma_f64 v[81:82], v[50:51], s[14:15], v[60:61]
	s_wait_alu 0xfffe
	v_fma_f64 v[60:61], v[50:51], s[24:25], v[60:61]
	v_fma_f64 v[83:84], v[50:51], s[10:11], v[63:64]
	;; [unrolled: 1-line block ×5, first 2 shown]
	v_add_f64_e32 v[63:64], v[28:29], v[24:25]
	v_fma_f64 v[97:98], v[67:68], s[10:11], v[69:70]
	v_fma_f64 v[69:70], v[67:68], s[18:19], v[69:70]
	;; [unrolled: 1-line block ×20, first 2 shown]
	v_add_f64_e32 v[44:45], v[28:29], v[44:45]
	v_add_f64_e32 v[67:68], v[77:78], v[12:13]
	;; [unrolled: 1-line block ×11, first 2 shown]
	v_add_f64_e64 v[50:51], v[30:31], -v[26:27]
	v_add_f64_e32 v[85:86], v[20:21], v[16:17]
	v_mul_f64_e32 v[107:108], s[36:37], v[63:64]
	v_mul_f64_e32 v[109:110], s[26:27], v[63:64]
	v_mul_f64_e32 v[111:112], s[30:31], v[63:64]
	v_mul_f64_e32 v[113:114], s[34:35], v[63:64]
	v_mul_f64_e32 v[63:64], s[28:29], v[63:64]
	v_add_f64_e32 v[44:45], v[16:17], v[44:45]
	v_add_f64_e32 v[67:68], v[97:98], v[67:68]
	v_add_f64_e32 v[52:53], v[69:70], v[52:53]
	v_add_f64_e32 v[69:70], v[99:100], v[77:78]
	v_add_f64_e32 v[54:55], v[71:72], v[54:55]
	v_add_f64_e32 v[71:72], v[101:102], v[79:80]
	v_add_f64_e32 v[60:61], v[73:74], v[60:61]
	v_add_f64_e32 v[48:49], v[48:49], v[81:82]
	v_add_f64_e32 v[73:74], v[75:76], v[83:84]
	v_add_f64_e32 v[46:47], v[103:104], v[46:47]
	v_add_f64_e32 v[12:13], v[105:106], v[12:13]
	v_add_f64_e64 v[75:76], v[18:19], -v[22:23]
	v_mul_f64_e32 v[77:78], s[34:35], v[85:86]
	v_mul_f64_e32 v[79:80], s[36:37], v[85:86]
	v_fma_f64 v[97:98], v[50:51], s[22:23], v[107:108]
	v_fma_f64 v[101:102], v[50:51], s[16:17], v[109:110]
	;; [unrolled: 1-line block ×10, first 2 shown]
	v_mul_f64_e32 v[81:82], s[28:29], v[85:86]
	v_mul_f64_e32 v[83:84], s[30:31], v[85:86]
	;; [unrolled: 1-line block ×3, first 2 shown]
	v_add_f64_e32 v[44:45], v[20:21], v[44:45]
	v_add_f64_e32 v[63:64], v[115:116], v[67:68]
	;; [unrolled: 1-line block ×11, first 2 shown]
	v_fma_f64 v[71:72], v[75:76], s[14:15], v[77:78]
	v_fma_f64 v[73:74], v[75:76], s[24:25], v[77:78]
	;; [unrolled: 1-line block ×10, first 2 shown]
	v_add_f64_e32 v[44:45], v[24:25], v[44:45]
	v_add_f64_e32 v[63:64], v[87:88], v[63:64]
	;; [unrolled: 1-line block ×22, first 2 shown]
	v_mul_u32_u24_e32 v69, 0x58, v59
	s_delay_alu instid0(VALU_DEP_1) | instskip(SKIP_1) | instid1(VALU_DEP_1)
	v_add3_u32 v69, 0, v69, v62
	v_add_f64_e32 v[44:45], v[0:1], v[44:45]
	v_add_f64_e32 v[44:45], v[4:5], v[44:45]
	ds_store_2addr_b64 v69, v[54:55], v[52:53] offset0:4 offset1:5
	ds_store_2addr_b64 v69, v[63:64], v[65:66] offset0:6 offset1:7
	;; [unrolled: 1-line block ×3, first 2 shown]
	ds_store_2addr_b64 v69, v[44:45], v[48:49] offset1:1
	ds_store_2addr_b64 v69, v[67:68], v[46:47] offset0:8 offset1:9
	ds_store_b64 v69, v[12:13] offset:80
.LBB0_14:
	s_wait_alu 0xfffe
	s_or_b32 exec_lo, exec_lo, s1
	s_wait_loadcnt 0xa
	v_lshlrev_b32_e32 v12, 3, v59
	global_wb scope:SCOPE_SE
	s_wait_loadcnt_dscnt 0x0
	s_barrier_signal -1
	s_barrier_wait -1
	global_inv scope:SCOPE_SE
	v_add_nc_u32_e32 v65, 0, v12
	v_add3_u32 v63, 0, v62, v12
	s_delay_alu instid0(VALU_DEP_2)
	v_add_nc_u32_e32 v64, v65, v62
	ds_load_2addr_b64 v[52:55], v64 offset0:11 offset1:22
	ds_load_2addr_b64 v[44:47], v64 offset0:33 offset1:44
	;; [unrolled: 1-line block ×3, first 2 shown]
	ds_load_b64 v[12:13], v63
	ds_load_b64 v[60:61], v64 offset:616
	global_wb scope:SCOPE_SE
	s_wait_dscnt 0x0
	s_barrier_signal -1
	s_barrier_wait -1
	global_inv scope:SCOPE_SE
	s_and_saveexec_b32 s28, s0
	s_cbranch_execz .LBB0_16
; %bb.15:
	v_add_f64_e32 v[66:67], v[42:43], v[14:15]
	v_add_f64_e64 v[4:5], v[40:41], -v[4:5]
	s_mov_b32 s22, 0xf8bb580b
	s_mov_b32 s14, 0xbb3a28a1
	s_mov_b32 s18, 0xfd768dbf
	s_mov_b32 s23, 0xbfe14ced
	s_mov_b32 s11, 0xbfed1bb4
	s_mov_b32 s10, 0x8eee2c13
	s_mov_b32 s15, 0xbfe82f19
	s_mov_b32 s19, 0xbfd207e7
	v_add_f64_e64 v[0:1], v[36:37], -v[0:1]
	v_add_f64_e32 v[36:37], v[42:43], v[6:7]
	s_mov_b32 s12, 0x43842ef
	s_mov_b32 s13, 0xbfefac9e
	;; [unrolled: 1-line block ×12, first 2 shown]
	s_wait_alu 0xfffe
	s_mov_b32 s30, s18
	s_mov_b32 s26, s12
	;; [unrolled: 1-line block ×5, first 2 shown]
	v_add_f64_e64 v[8:9], v[32:33], -v[8:9]
	v_add_f64_e32 v[32:33], v[2:3], v[38:39]
	s_mov_b32 s3, 0xbfc2375f
	v_add_f64_e64 v[24:25], v[28:29], -v[24:25]
	v_add_f64_e64 v[16:17], v[16:17], -v[20:21]
	v_add_f64_e32 v[66:67], v[38:39], v[66:67]
	v_mul_f64_e32 v[42:43], s[22:23], v[4:5]
	v_mul_f64_e32 v[68:69], s[14:15], v[4:5]
	;; [unrolled: 1-line block ×5, first 2 shown]
	s_wait_alu 0xfffe
	v_mul_f64_e32 v[74:75], s[30:31], v[0:1]
	v_mul_f64_e32 v[76:77], s[26:27], v[0:1]
	;; [unrolled: 1-line block ×8, first 2 shown]
	v_add_f64_e32 v[40:41], v[34:35], v[66:67]
	v_mul_f64_e32 v[66:67], s[10:11], v[4:5]
	v_mul_f64_e32 v[4:5], s[12:13], v[4:5]
	v_fma_f64 v[78:79], v[36:37], s[6:7], -v[42:43]
	v_fma_f64 v[82:83], v[36:37], s[16:17], -v[68:69]
	v_fma_f64 v[68:69], v[36:37], s[16:17], v[68:69]
	v_fma_f64 v[84:85], v[36:37], s[20:21], -v[70:71]
	v_fma_f64 v[70:71], v[36:37], s[20:21], v[70:71]
	s_mov_b32 s11, 0x3fed1bb4
	v_add_f64_e32 v[34:35], v[34:35], v[10:11]
	v_fma_f64 v[92:93], v[32:33], s[0:1], -v[38:39]
	v_fma_f64 v[38:39], v[32:33], s[0:1], v[38:39]
	v_fma_f64 v[94:95], v[32:33], s[16:17], -v[72:73]
	v_fma_f64 v[72:73], v[32:33], s[16:17], v[72:73]
	;; [unrolled: 2-line block ×5, first 2 shown]
	v_add_f64_e32 v[40:41], v[30:31], v[40:41]
	v_fma_f64 v[80:81], v[36:37], s[0:1], -v[66:67]
	v_fma_f64 v[66:67], v[36:37], s[0:1], v[66:67]
	v_fma_f64 v[86:87], v[36:37], s[2:3], -v[4:5]
	v_fma_f64 v[4:5], v[36:37], s[2:3], v[4:5]
	v_fma_f64 v[36:37], v[36:37], s[6:7], v[42:43]
	v_mul_f64_e32 v[42:43], s[30:31], v[8:9]
	s_wait_alu 0xfffe
	v_mul_f64_e32 v[8:9], s[10:11], v[8:9]
	v_add_f64_e32 v[32:33], v[78:79], v[14:15]
	v_add_f64_e32 v[68:69], v[68:69], v[14:15]
	;; [unrolled: 1-line block ×4, first 2 shown]
	v_fma_f64 v[104:105], v[34:35], s[2:3], -v[28:29]
	v_fma_f64 v[28:29], v[34:35], s[2:3], v[28:29]
	v_fma_f64 v[108:109], v[34:35], s[6:7], -v[88:89]
	v_fma_f64 v[88:89], v[34:35], s[6:7], v[88:89]
	;; [unrolled: 2-line block ×3, first 2 shown]
	v_add_f64_e32 v[40:41], v[18:19], v[40:41]
	v_add_f64_e32 v[78:79], v[80:81], v[14:15]
	v_add_f64_e32 v[66:67], v[66:67], v[14:15]
	v_add_f64_e32 v[80:81], v[82:83], v[14:15]
	v_add_f64_e32 v[82:83], v[84:85], v[14:15]
	v_add_f64_e32 v[84:85], v[86:87], v[14:15]
	v_add_f64_e32 v[4:5], v[4:5], v[14:15]
	v_add_f64_e32 v[14:15], v[36:37], v[14:15]
	v_mul_f64_e32 v[36:37], s[26:27], v[24:25]
	v_mul_f64_e32 v[86:87], s[22:23], v[24:25]
	;; [unrolled: 1-line block ×3, first 2 shown]
	v_fma_f64 v[106:107], v[34:35], s[20:21], -v[42:43]
	v_fma_f64 v[42:43], v[34:35], s[20:21], v[42:43]
	v_fma_f64 v[112:113], v[34:35], s[0:1], -v[8:9]
	v_fma_f64 v[8:9], v[34:35], s[0:1], v[8:9]
	v_add_f64_e32 v[32:33], v[32:33], v[92:93]
	v_add_f64_e32 v[68:69], v[68:69], v[76:77]
	;; [unrolled: 1-line block ×4, first 2 shown]
	v_mul_f64_e32 v[70:71], s[14:15], v[16:17]
	v_fma_f64 v[92:93], v[30:31], s[20:21], v[102:103]
	v_add_f64_e32 v[40:41], v[22:23], v[40:41]
	v_add_f64_e32 v[34:35], v[78:79], v[94:95]
	;; [unrolled: 1-line block ×5, first 2 shown]
	v_mul_f64_e32 v[22:23], s[18:19], v[16:17]
	v_add_f64_e32 v[4:5], v[4:5], v[74:75]
	v_add_f64_e32 v[14:15], v[14:15], v[38:39]
	v_mul_f64_e32 v[38:39], s[24:25], v[16:17]
	v_mul_f64_e32 v[74:75], s[12:13], v[16:17]
	v_mul_f64_e32 v[16:17], s[10:11], v[16:17]
	v_fma_f64 v[78:79], v[30:31], s[16:17], -v[20:21]
	v_fma_f64 v[20:21], v[30:31], s[16:17], v[20:21]
	v_fma_f64 v[80:81], v[30:31], s[2:3], -v[36:37]
	v_fma_f64 v[36:37], v[30:31], s[2:3], v[36:37]
	v_fma_f64 v[82:83], v[30:31], s[6:7], -v[86:87]
	v_fma_f64 v[94:95], v[30:31], s[0:1], -v[24:25]
	v_fma_f64 v[24:25], v[30:31], s[0:1], v[24:25]
	v_add_f64_e32 v[0:1], v[90:91], v[0:1]
	v_add_f64_e32 v[26:27], v[26:27], v[40:41]
	v_add_f64_e32 v[40:41], v[84:85], v[96:97]
	v_fma_f64 v[84:85], v[30:31], s[6:7], v[86:87]
	v_fma_f64 v[86:87], v[30:31], s[20:21], -v[102:103]
	v_add_f64_e32 v[30:31], v[104:105], v[32:33]
	v_add_f64_e32 v[32:33], v[106:107], v[34:35]
	;; [unrolled: 1-line block ×8, first 2 shown]
	v_fma_f64 v[14:15], v[18:19], s[20:21], -v[22:23]
	v_fma_f64 v[22:23], v[18:19], s[20:21], v[22:23]
	v_fma_f64 v[28:29], v[18:19], s[6:7], -v[38:39]
	v_fma_f64 v[38:39], v[18:19], s[6:7], v[38:39]
	;; [unrolled: 2-line block ×4, first 2 shown]
	v_add_f64_e32 v[0:1], v[24:25], v[0:1]
	v_add_f64_e32 v[10:11], v[10:11], v[26:27]
	;; [unrolled: 1-line block ×3, first 2 shown]
	v_fma_f64 v[40:41], v[18:19], s[16:17], -v[70:71]
	v_fma_f64 v[70:71], v[18:19], s[16:17], v[70:71]
	v_add_f64_e32 v[18:19], v[78:79], v[30:31]
	v_add_f64_e32 v[30:31], v[80:81], v[32:33]
	;; [unrolled: 1-line block ×21, first 2 shown]
	v_mul_u32_u24_e32 v10, 0x50, v59
	s_delay_alu instid0(VALU_DEP_1)
	v_add3_u32 v10, v65, v10, v62
	ds_store_2addr_b64 v10, v[24:25], v[26:27] offset0:4 offset1:5
	ds_store_2addr_b64 v10, v[0:1], v[16:17] offset0:6 offset1:7
	ds_store_2addr_b64 v10, v[2:3], v[14:15] offset1:1
	ds_store_2addr_b64 v10, v[18:19], v[6:7] offset0:2 offset1:3
	ds_store_2addr_b64 v10, v[4:5], v[20:21] offset0:8 offset1:9
	ds_store_b64 v10, v[8:9] offset:80
.LBB0_16:
	s_wait_alu 0xfffe
	s_or_b32 exec_lo, exec_lo, s28
	global_wb scope:SCOPE_SE
	s_wait_dscnt 0x0
	s_barrier_signal -1
	s_barrier_wait -1
	global_inv scope:SCOPE_SE
	s_and_saveexec_b32 s0, vcc_lo
	s_cbranch_execz .LBB0_18
; %bb.17:
	v_mul_u32_u24_e32 v0, 7, v59
	s_mov_b32 s0, 0x667f3bcd
	s_mov_b32 s1, 0x3fe6a09e
	;; [unrolled: 1-line block ×3, first 2 shown]
	s_wait_alu 0xfffe
	s_mov_b32 s2, s0
	v_lshlrev_b32_e32 v26, 4, v0
	s_clause 0x6
	global_load_b128 v[0:3], v26, s[4:5] offset:48
	global_load_b128 v[4:7], v26, s[4:5] offset:16
	;; [unrolled: 1-line block ×3, first 2 shown]
	global_load_b128 v[14:17], v26, s[4:5]
	global_load_b128 v[18:21], v26, s[4:5] offset:64
	global_load_b128 v[22:25], v26, s[4:5] offset:32
	;; [unrolled: 1-line block ×3, first 2 shown]
	ds_load_2addr_b64 v[30:33], v64 offset0:11 offset1:22
	ds_load_2addr_b64 v[34:37], v64 offset0:55 offset1:66
	ds_load_2addr_b64 v[38:41], v64 offset0:33 offset1:44
	s_wait_loadcnt 0x6
	v_mul_f64_e32 v[42:43], v[46:47], v[2:3]
	s_wait_loadcnt 0x5
	v_mul_f64_e32 v[65:66], v[54:55], v[4:5]
	;; [unrolled: 2-line block ×7, first 2 shown]
	s_wait_dscnt 0x2
	v_mul_f64_e32 v[16:17], v[30:31], v[16:17]
	v_mul_f64_e32 v[54:55], v[54:55], v[6:7]
	;; [unrolled: 1-line block ×3, first 2 shown]
	s_wait_dscnt 0x1
	v_mul_f64_e32 v[20:21], v[34:35], v[20:21]
	s_wait_dscnt 0x0
	v_mul_f64_e32 v[2:3], v[40:41], v[2:3]
	v_mul_f64_e32 v[44:45], v[44:45], v[24:25]
	v_mul_f64_e32 v[59:60], v[60:61], v[28:29]
	ds_load_b64 v[61:62], v64 offset:616
	v_fma_f64 v[40:41], v[40:41], v[0:1], -v[42:43]
	v_fma_f64 v[6:7], v[32:33], v[6:7], v[65:66]
	v_fma_f64 v[10:11], v[36:37], v[10:11], v[67:68]
	v_fma_f64 v[30:31], v[30:31], v[14:15], -v[69:70]
	v_fma_f64 v[34:35], v[34:35], v[18:19], -v[71:72]
	v_fma_f64 v[24:25], v[38:39], v[24:25], v[73:74]
	v_fma_f64 v[14:15], v[52:53], v[14:15], v[16:17]
	v_fma_f64 v[4:5], v[32:33], v[4:5], -v[54:55]
	v_fma_f64 v[8:9], v[36:37], v[8:9], -v[50:51]
	v_fma_f64 v[16:17], v[48:49], v[18:19], v[20:21]
	ds_load_b64 v[20:21], v63
	s_wait_dscnt 0x1
	v_fma_f64 v[28:29], v[61:62], v[28:29], v[75:76]
	v_fma_f64 v[0:1], v[46:47], v[0:1], v[2:3]
	v_fma_f64 v[2:3], v[38:39], v[22:23], -v[44:45]
	v_fma_f64 v[18:19], v[61:62], v[26:27], -v[59:60]
	v_mov_b32_e32 v59, 0
	s_wait_dscnt 0x0
	v_add_f64_e64 v[22:23], v[20:21], -v[40:41]
	v_add_f64_e64 v[10:11], v[6:7], -v[10:11]
	;; [unrolled: 1-line block ×8, first 2 shown]
	v_fma_f64 v[20:21], v[20:21], 2.0, -v[22:23]
	v_fma_f64 v[6:7], v[6:7], 2.0, -v[10:11]
	v_add_f64_e64 v[32:33], v[22:23], -v[10:11]
	v_fma_f64 v[4:5], v[4:5], 2.0, -v[8:9]
	v_fma_f64 v[14:15], v[14:15], 2.0, -v[16:17]
	v_add_f64_e64 v[34:35], v[26:27], -v[28:29]
	v_fma_f64 v[24:25], v[24:25], 2.0, -v[28:29]
	v_fma_f64 v[12:13], v[12:13], 2.0, -v[0:1]
	v_fma_f64 v[28:29], v[30:31], 2.0, -v[26:27]
	v_fma_f64 v[2:3], v[2:3], 2.0, -v[18:19]
	v_add_f64_e32 v[10:11], v[16:17], v[18:19]
	v_add_f64_e32 v[30:31], v[0:1], v[8:9]
	v_fma_f64 v[38:39], v[22:23], 2.0, -v[32:33]
	v_add_f64_e64 v[36:37], v[20:21], -v[4:5]
	v_fma_f64 v[8:9], v[26:27], 2.0, -v[34:35]
	v_add_f64_e64 v[4:5], v[14:15], -v[24:25]
	v_add_f64_e64 v[24:25], v[12:13], -v[6:7]
	;; [unrolled: 1-line block ×3, first 2 shown]
	v_fma_f64 v[16:17], v[16:17], 2.0, -v[10:11]
	v_fma_f64 v[40:41], v[0:1], 2.0, -v[30:31]
	v_fma_f64 v[0:1], v[34:35], s[0:1], v[32:33]
	v_fma_f64 v[22:23], v[10:11], s[0:1], v[30:31]
	v_fma_f64 v[42:43], v[20:21], 2.0, -v[36:37]
	s_wait_alu 0xfffe
	v_fma_f64 v[26:27], v[8:9], s[2:3], v[38:39]
	v_add_f64_e64 v[6:7], v[36:37], -v[4:5]
	v_fma_f64 v[20:21], v[28:29], 2.0, -v[18:19]
	v_fma_f64 v[28:29], v[12:13], 2.0, -v[24:25]
	;; [unrolled: 1-line block ×3, first 2 shown]
	v_fma_f64 v[44:45], v[16:17], s[2:3], v[40:41]
	v_add_f64_e32 v[4:5], v[24:25], v[18:19]
	v_fma_f64 v[2:3], v[10:11], s[2:3], v[0:1]
	v_fma_f64 v[0:1], v[34:35], s[0:1], v[22:23]
	v_lshlrev_b64_e32 v[34:35], 4, v[58:59]
	v_fma_f64 v[10:11], v[16:17], s[2:3], v[26:27]
	v_fma_f64 v[22:23], v[36:37], 2.0, -v[6:7]
	v_add_f64_e64 v[14:15], v[42:43], -v[20:21]
	v_add_f64_e64 v[12:13], v[28:29], -v[12:13]
	v_fma_f64 v[8:9], v[8:9], s[0:1], v[44:45]
	v_fma_f64 v[20:21], v[24:25], 2.0, -v[4:5]
	v_fma_f64 v[18:19], v[32:33], 2.0, -v[2:3]
	;; [unrolled: 1-line block ×3, first 2 shown]
	v_lshlrev_b64_e32 v[32:33], 4, v[56:57]
	s_delay_alu instid0(VALU_DEP_1) | instskip(SKIP_1) | instid1(VALU_DEP_2)
	v_add_co_u32 v32, vcc_lo, s8, v32
	s_wait_alu 0xfffd
	v_add_co_ci_u32_e32 v33, vcc_lo, s9, v33, vcc_lo
	s_delay_alu instid0(VALU_DEP_2) | instskip(SKIP_1) | instid1(VALU_DEP_2)
	v_add_co_u32 v32, vcc_lo, v32, v34
	s_wait_alu 0xfffd
	v_add_co_ci_u32_e32 v33, vcc_lo, v33, v35, vcc_lo
	v_fma_f64 v[26:27], v[38:39], 2.0, -v[10:11]
	v_fma_f64 v[30:31], v[42:43], 2.0, -v[14:15]
	v_fma_f64 v[28:29], v[28:29], 2.0, -v[12:13]
	v_fma_f64 v[24:25], v[40:41], 2.0, -v[8:9]
	s_clause 0x7
	global_store_b128 v[32:33], v[20:23], off offset:352
	global_store_b128 v[32:33], v[16:19], off offset:528
	;; [unrolled: 1-line block ×4, first 2 shown]
	global_store_b128 v[32:33], v[28:31], off
	global_store_b128 v[32:33], v[24:27], off offset:176
	global_store_b128 v[32:33], v[4:7], off offset:1056
	;; [unrolled: 1-line block ×3, first 2 shown]
.LBB0_18:
	s_nop 0
	s_sendmsg sendmsg(MSG_DEALLOC_VGPRS)
	s_endpgm
	.section	.rodata,"a",@progbits
	.p2align	6, 0x0
	.amdhsa_kernel fft_rtc_back_len88_factors_11_8_wgs_121_tpt_11_halfLds_dp_ip_CI_unitstride_sbrr_dirReg
		.amdhsa_group_segment_fixed_size 0
		.amdhsa_private_segment_fixed_size 0
		.amdhsa_kernarg_size 88
		.amdhsa_user_sgpr_count 2
		.amdhsa_user_sgpr_dispatch_ptr 0
		.amdhsa_user_sgpr_queue_ptr 0
		.amdhsa_user_sgpr_kernarg_segment_ptr 1
		.amdhsa_user_sgpr_dispatch_id 0
		.amdhsa_user_sgpr_private_segment_size 0
		.amdhsa_wavefront_size32 1
		.amdhsa_uses_dynamic_stack 0
		.amdhsa_enable_private_segment 0
		.amdhsa_system_sgpr_workgroup_id_x 1
		.amdhsa_system_sgpr_workgroup_id_y 0
		.amdhsa_system_sgpr_workgroup_id_z 0
		.amdhsa_system_sgpr_workgroup_info 0
		.amdhsa_system_vgpr_workitem_id 0
		.amdhsa_next_free_vgpr 125
		.amdhsa_next_free_sgpr 38
		.amdhsa_reserve_vcc 1
		.amdhsa_float_round_mode_32 0
		.amdhsa_float_round_mode_16_64 0
		.amdhsa_float_denorm_mode_32 3
		.amdhsa_float_denorm_mode_16_64 3
		.amdhsa_fp16_overflow 0
		.amdhsa_workgroup_processor_mode 1
		.amdhsa_memory_ordered 1
		.amdhsa_forward_progress 0
		.amdhsa_round_robin_scheduling 0
		.amdhsa_exception_fp_ieee_invalid_op 0
		.amdhsa_exception_fp_denorm_src 0
		.amdhsa_exception_fp_ieee_div_zero 0
		.amdhsa_exception_fp_ieee_overflow 0
		.amdhsa_exception_fp_ieee_underflow 0
		.amdhsa_exception_fp_ieee_inexact 0
		.amdhsa_exception_int_div_zero 0
	.end_amdhsa_kernel
	.text
.Lfunc_end0:
	.size	fft_rtc_back_len88_factors_11_8_wgs_121_tpt_11_halfLds_dp_ip_CI_unitstride_sbrr_dirReg, .Lfunc_end0-fft_rtc_back_len88_factors_11_8_wgs_121_tpt_11_halfLds_dp_ip_CI_unitstride_sbrr_dirReg
                                        ; -- End function
	.section	.AMDGPU.csdata,"",@progbits
; Kernel info:
; codeLenInByte = 4936
; NumSgprs: 40
; NumVgprs: 125
; ScratchSize: 0
; MemoryBound: 1
; FloatMode: 240
; IeeeMode: 1
; LDSByteSize: 0 bytes/workgroup (compile time only)
; SGPRBlocks: 4
; VGPRBlocks: 15
; NumSGPRsForWavesPerEU: 40
; NumVGPRsForWavesPerEU: 125
; Occupancy: 10
; WaveLimiterHint : 1
; COMPUTE_PGM_RSRC2:SCRATCH_EN: 0
; COMPUTE_PGM_RSRC2:USER_SGPR: 2
; COMPUTE_PGM_RSRC2:TRAP_HANDLER: 0
; COMPUTE_PGM_RSRC2:TGID_X_EN: 1
; COMPUTE_PGM_RSRC2:TGID_Y_EN: 0
; COMPUTE_PGM_RSRC2:TGID_Z_EN: 0
; COMPUTE_PGM_RSRC2:TIDIG_COMP_CNT: 0
	.text
	.p2alignl 7, 3214868480
	.fill 96, 4, 3214868480
	.type	__hip_cuid_5907f921859942ce,@object ; @__hip_cuid_5907f921859942ce
	.section	.bss,"aw",@nobits
	.globl	__hip_cuid_5907f921859942ce
__hip_cuid_5907f921859942ce:
	.byte	0                               ; 0x0
	.size	__hip_cuid_5907f921859942ce, 1

	.ident	"AMD clang version 19.0.0git (https://github.com/RadeonOpenCompute/llvm-project roc-6.4.0 25133 c7fe45cf4b819c5991fe208aaa96edf142730f1d)"
	.section	".note.GNU-stack","",@progbits
	.addrsig
	.addrsig_sym __hip_cuid_5907f921859942ce
	.amdgpu_metadata
---
amdhsa.kernels:
  - .args:
      - .actual_access:  read_only
        .address_space:  global
        .offset:         0
        .size:           8
        .value_kind:     global_buffer
      - .offset:         8
        .size:           8
        .value_kind:     by_value
      - .actual_access:  read_only
        .address_space:  global
        .offset:         16
        .size:           8
        .value_kind:     global_buffer
      - .actual_access:  read_only
        .address_space:  global
        .offset:         24
        .size:           8
        .value_kind:     global_buffer
      - .offset:         32
        .size:           8
        .value_kind:     by_value
      - .actual_access:  read_only
        .address_space:  global
        .offset:         40
        .size:           8
        .value_kind:     global_buffer
      - .actual_access:  read_only
        .address_space:  global
        .offset:         48
        .size:           8
        .value_kind:     global_buffer
      - .offset:         56
        .size:           4
        .value_kind:     by_value
      - .actual_access:  read_only
        .address_space:  global
        .offset:         64
        .size:           8
        .value_kind:     global_buffer
      - .actual_access:  read_only
        .address_space:  global
        .offset:         72
        .size:           8
        .value_kind:     global_buffer
      - .address_space:  global
        .offset:         80
        .size:           8
        .value_kind:     global_buffer
    .group_segment_fixed_size: 0
    .kernarg_segment_align: 8
    .kernarg_segment_size: 88
    .language:       OpenCL C
    .language_version:
      - 2
      - 0
    .max_flat_workgroup_size: 121
    .name:           fft_rtc_back_len88_factors_11_8_wgs_121_tpt_11_halfLds_dp_ip_CI_unitstride_sbrr_dirReg
    .private_segment_fixed_size: 0
    .sgpr_count:     40
    .sgpr_spill_count: 0
    .symbol:         fft_rtc_back_len88_factors_11_8_wgs_121_tpt_11_halfLds_dp_ip_CI_unitstride_sbrr_dirReg.kd
    .uniform_work_group_size: 1
    .uses_dynamic_stack: false
    .vgpr_count:     125
    .vgpr_spill_count: 0
    .wavefront_size: 32
    .workgroup_processor_mode: 1
amdhsa.target:   amdgcn-amd-amdhsa--gfx1201
amdhsa.version:
  - 1
  - 2
...

	.end_amdgpu_metadata
